;; amdgpu-corpus repo=ROCm/rocFFT kind=compiled arch=gfx1030 opt=O3
	.text
	.amdgcn_target "amdgcn-amd-amdhsa--gfx1030"
	.amdhsa_code_object_version 6
	.protected	bluestein_single_fwd_len275_dim1_dp_op_CI_CI ; -- Begin function bluestein_single_fwd_len275_dim1_dp_op_CI_CI
	.globl	bluestein_single_fwd_len275_dim1_dp_op_CI_CI
	.p2align	8
	.type	bluestein_single_fwd_len275_dim1_dp_op_CI_CI,@function
bluestein_single_fwd_len275_dim1_dp_op_CI_CI: ; @bluestein_single_fwd_len275_dim1_dp_op_CI_CI
; %bb.0:
	s_load_dwordx4 s[0:3], s[4:5], 0x28
	v_mul_u32_u24_e32 v1, 0x4a8, v0
	v_mov_b32_e32 v77, 0
	v_lshrrev_b32_e32 v1, 16, v1
	v_add_nc_u32_e32 v76, s6, v1
	s_waitcnt lgkmcnt(0)
	v_cmp_gt_u64_e32 vcc_lo, s[0:1], v[76:77]
	s_and_saveexec_b32 s0, vcc_lo
	s_cbranch_execz .LBB0_15
; %bb.1:
	s_clause 0x1
	s_load_dwordx2 s[14:15], s[4:5], 0x0
	s_load_dwordx2 s[12:13], s[4:5], 0x38
	v_mul_lo_u16 v1, v1, 55
	v_sub_nc_u16 v0, v0, v1
	v_and_b32_e32 v170, 0xffff, v0
	v_cmp_gt_u16_e32 vcc_lo, 25, v0
	v_lshlrev_b32_e32 v169, 4, v170
	s_and_saveexec_b32 s1, vcc_lo
	s_cbranch_execz .LBB0_3
; %bb.2:
	s_load_dwordx2 s[6:7], s[4:5], 0x18
	s_waitcnt lgkmcnt(0)
	s_load_dwordx4 s[8:11], s[6:7], 0x0
	s_waitcnt lgkmcnt(0)
	v_mad_u64_u32 v[24:25], null, s10, v76, 0
	v_mad_u64_u32 v[26:27], null, s8, v170, 0
	s_mul_i32 s6, s9, 0x190
	s_mul_hi_u32 s7, s8, 0x190
	s_add_i32 s7, s7, s6
	v_mov_b32_e32 v0, v25
	v_mov_b32_e32 v1, v27
	v_mad_u64_u32 v[8:9], null, s11, v76, v[0:1]
	v_mad_u64_u32 v[27:28], null, s9, v170, v[1:2]
	v_add_co_u32 v28, s0, s14, v169
	v_add_co_ci_u32_e64 v29, null, s15, 0, s0
	v_mov_b32_e32 v25, v8
	s_clause 0x1
	global_load_dwordx4 v[0:3], v169, s[14:15]
	global_load_dwordx4 v[4:7], v169, s[14:15] offset:400
	v_lshlrev_b64 v[26:27], 4, v[26:27]
	s_clause 0x3
	global_load_dwordx4 v[8:11], v169, s[14:15] offset:800
	global_load_dwordx4 v[12:15], v169, s[14:15] offset:1200
	;; [unrolled: 1-line block ×4, first 2 shown]
	v_lshlrev_b64 v[24:25], 4, v[24:25]
	v_add_co_u32 v24, s0, s2, v24
	v_add_co_ci_u32_e64 v25, s0, s3, v25, s0
	s_mul_i32 s2, s8, 0x190
	v_add_co_u32 v32, s0, v24, v26
	v_add_co_ci_u32_e64 v33, s0, v25, v27, s0
	v_add_co_u32 v36, s0, v32, s2
	v_add_co_ci_u32_e64 v37, s0, s7, v33, s0
	;; [unrolled: 2-line block ×4, first 2 shown]
	s_clause 0x1
	global_load_dwordx4 v[24:27], v[81:82], off offset:352
	global_load_dwordx4 v[28:31], v[81:82], off offset:752
	v_add_co_u32 v44, s0, v40, s2
	v_add_co_ci_u32_e64 v45, s0, s7, v41, s0
	s_clause 0x1
	global_load_dwordx4 v[32:35], v[32:33], off
	global_load_dwordx4 v[36:39], v[36:37], off
	v_add_co_u32 v48, s0, v44, s2
	v_add_co_ci_u32_e64 v49, s0, s7, v45, s0
	s_clause 0x1
	global_load_dwordx4 v[40:43], v[40:41], off
	global_load_dwordx4 v[44:47], v[44:45], off
	v_add_co_u32 v52, s0, v48, s2
	v_add_co_ci_u32_e64 v53, s0, s7, v49, s0
	global_load_dwordx4 v[48:51], v[48:49], off
	v_add_co_u32 v56, s0, v52, s2
	v_add_co_ci_u32_e64 v57, s0, s7, v53, s0
	;; [unrolled: 3-line block ×6, first 2 shown]
	s_clause 0x1
	global_load_dwordx4 v[68:71], v[81:82], off offset:1152
	global_load_dwordx4 v[72:75], v[81:82], off offset:1552
	global_load_dwordx4 v[77:80], v[77:78], off
	global_load_dwordx4 v[81:84], v[81:82], off offset:1952
	global_load_dwordx4 v[85:88], v[85:86], off
	s_waitcnt vmcnt(13)
	v_mul_f64 v[89:90], v[34:35], v[2:3]
	v_mul_f64 v[2:3], v[32:33], v[2:3]
	s_waitcnt vmcnt(12)
	v_mul_f64 v[91:92], v[38:39], v[6:7]
	v_mul_f64 v[6:7], v[36:37], v[6:7]
	;; [unrolled: 3-line block ×8, first 2 shown]
	v_fma_f64 v[30:31], v[32:33], v[0:1], v[89:90]
	v_fma_f64 v[32:33], v[34:35], v[0:1], -v[2:3]
	v_fma_f64 v[0:1], v[36:37], v[4:5], v[91:92]
	v_fma_f64 v[2:3], v[38:39], v[4:5], -v[6:7]
	s_waitcnt vmcnt(4)
	v_mul_f64 v[107:108], v[66:67], v[70:71]
	v_mul_f64 v[70:71], v[64:65], v[70:71]
	s_waitcnt vmcnt(2)
	v_mul_f64 v[109:110], v[79:80], v[74:75]
	v_mul_f64 v[74:75], v[77:78], v[74:75]
	;; [unrolled: 3-line block ×3, first 2 shown]
	v_fma_f64 v[4:5], v[40:41], v[8:9], v[93:94]
	v_fma_f64 v[6:7], v[42:43], v[8:9], -v[10:11]
	v_fma_f64 v[8:9], v[44:45], v[12:13], v[95:96]
	v_fma_f64 v[10:11], v[46:47], v[12:13], -v[14:15]
	;; [unrolled: 2-line block ×9, first 2 shown]
	ds_write_b128 v169, v[30:33]
	ds_write_b128 v169, v[0:3] offset:400
	ds_write_b128 v169, v[4:7] offset:800
	;; [unrolled: 1-line block ×10, first 2 shown]
.LBB0_3:
	s_or_b32 exec_lo, exec_lo, s1
	s_clause 0x1
	s_load_dwordx2 s[2:3], s[4:5], 0x20
	s_load_dwordx2 s[0:1], s[4:5], 0x8
	s_waitcnt lgkmcnt(0)
	s_barrier
	buffer_gl0_inv
                                        ; implicit-def: $vgpr24_vgpr25
                                        ; implicit-def: $vgpr48_vgpr49
                                        ; implicit-def: $vgpr56_vgpr57
                                        ; implicit-def: $vgpr64_vgpr65
                                        ; implicit-def: $vgpr60_vgpr61
                                        ; implicit-def: $vgpr52_vgpr53
                                        ; implicit-def: $vgpr44_vgpr45
                                        ; implicit-def: $vgpr40_vgpr41
                                        ; implicit-def: $vgpr36_vgpr37
                                        ; implicit-def: $vgpr28_vgpr29
                                        ; implicit-def: $vgpr32_vgpr33
	s_and_saveexec_b32 s4, vcc_lo
	s_cbranch_execz .LBB0_5
; %bb.4:
	ds_read_b128 v[24:27], v169
	ds_read_b128 v[48:51], v169 offset:400
	ds_read_b128 v[56:59], v169 offset:800
	;; [unrolled: 1-line block ×10, first 2 shown]
.LBB0_5:
	s_or_b32 exec_lo, exec_lo, s4
	s_waitcnt lgkmcnt(0)
	v_add_f64 v[0:1], v[50:51], -v[34:35]
	v_add_f64 v[2:3], v[48:49], -v[32:33]
	s_mov_b32 s20, 0xf8bb580b
	s_mov_b32 s21, 0xbfe14ced
	;; [unrolled: 1-line block ×4, first 2 shown]
	v_add_f64 v[74:75], v[48:49], v[32:33]
	v_add_f64 v[4:5], v[58:59], -v[30:31]
	v_add_f64 v[79:80], v[50:51], v[34:35]
	v_add_f64 v[6:7], v[56:57], -v[28:29]
	s_mov_b32 s6, 0x8764f0ba
	s_mov_b32 s4, 0xd9c712b6
	;; [unrolled: 1-line block ×6, first 2 shown]
	v_add_f64 v[72:73], v[56:57], v[28:29]
	v_add_f64 v[77:78], v[58:59], v[30:31]
	v_add_f64 v[8:9], v[66:67], -v[38:39]
	v_add_f64 v[10:11], v[64:65], -v[36:37]
	s_mov_b32 s22, 0x43842ef
	s_mov_b32 s10, 0x7f775887
	v_mul_f64 v[68:69], v[0:1], s[20:21]
	v_mul_f64 v[70:71], v[2:3], s[20:21]
	;; [unrolled: 1-line block ×4, first 2 shown]
	s_mov_b32 s26, 0xfd768dbf
	s_mov_b32 s23, 0xbfefac9e
	;; [unrolled: 1-line block ×3, first 2 shown]
	v_mul_f64 v[89:90], v[4:5], s[18:19]
	v_mul_f64 v[97:98], v[4:5], s[24:25]
	;; [unrolled: 1-line block ×4, first 2 shown]
	s_mov_b32 s27, 0xbfd207e7
	s_mov_b32 s31, 0x3fd207e7
	;; [unrolled: 1-line block ×3, first 2 shown]
	v_add_f64 v[111:112], v[64:65], v[36:37]
	v_add_f64 v[113:114], v[66:67], v[38:39]
	v_mul_f64 v[121:122], v[0:1], s[22:23]
	v_mul_f64 v[123:124], v[2:3], s[22:23]
	;; [unrolled: 1-line block ×6, first 2 shown]
	v_fma_f64 v[16:17], v[74:75], s[6:7], v[68:69]
	v_fma_f64 v[18:19], v[79:80], s[6:7], -v[70:71]
	v_fma_f64 v[20:21], v[74:75], s[4:5], v[85:86]
	v_fma_f64 v[22:23], v[79:80], s[4:5], -v[99:100]
	v_mul_f64 v[129:130], v[0:1], s[24:25]
	v_mul_f64 v[131:132], v[2:3], s[24:25]
	;; [unrolled: 1-line block ×3, first 2 shown]
	v_fma_f64 v[125:126], v[72:73], s[4:5], v[89:90]
	v_fma_f64 v[133:134], v[72:73], s[10:11], v[97:98]
	v_fma_f64 v[127:128], v[77:78], s[4:5], -v[93:94]
	v_fma_f64 v[135:136], v[77:78], s[10:11], -v[107:108]
	v_mul_f64 v[2:3], v[2:3], s[26:27]
	s_mov_b32 s8, 0x640f44db
	s_mov_b32 s16, 0x9bcd5057
	;; [unrolled: 1-line block ×8, first 2 shown]
	v_fma_f64 v[141:142], v[111:112], s[8:9], v[87:88]
	v_fma_f64 v[143:144], v[113:114], s[8:9], -v[91:92]
	v_add_f64 v[16:17], v[24:25], v[16:17]
	v_add_f64 v[18:19], v[26:27], v[18:19]
	;; [unrolled: 1-line block ×4, first 2 shown]
	v_fma_f64 v[145:146], v[111:112], s[16:17], v[95:96]
	v_fma_f64 v[147:148], v[113:114], s[16:17], -v[101:102]
	v_fma_f64 v[149:150], v[74:75], s[8:9], v[121:122]
	v_fma_f64 v[151:152], v[79:80], s[8:9], -v[123:124]
	v_mul_f64 v[137:138], v[4:5], s[34:35]
	v_fma_f64 v[153:154], v[74:75], s[10:11], v[129:130]
	v_mul_f64 v[139:140], v[6:7], s[34:35]
	v_fma_f64 v[155:156], v[79:80], s[10:11], -v[131:132]
	v_fma_f64 v[159:160], v[74:75], s[16:17], -v[0:1]
	v_fma_f64 v[161:162], v[79:80], s[16:17], v[2:3]
	v_fma_f64 v[0:1], v[74:75], s[16:17], v[0:1]
	v_fma_f64 v[2:3], v[79:80], s[16:17], -v[2:3]
	s_mov_b32 s19, 0x3fed1bb4
	v_add_f64 v[12:13], v[62:63], -v[42:43]
	v_add_f64 v[14:15], v[60:61], -v[40:41]
	v_mul_f64 v[157:158], v[10:11], s[20:21]
	v_add_f64 v[103:104], v[60:61], v[40:41]
	v_add_f64 v[105:106], v[62:63], v[42:43]
	;; [unrolled: 1-line block ×6, first 2 shown]
	v_mul_f64 v[133:134], v[4:5], s[30:31]
	v_mul_f64 v[135:136], v[6:7], s[30:31]
	;; [unrolled: 1-line block ×4, first 2 shown]
	v_add_f64 v[149:150], v[24:25], v[149:150]
	v_add_f64 v[163:164], v[24:25], v[153:154]
	v_fma_f64 v[165:166], v[72:73], s[8:9], v[137:138]
	v_add_f64 v[155:156], v[26:27], v[155:156]
	v_fma_f64 v[167:168], v[77:78], s[8:9], -v[139:140]
	v_mul_f64 v[153:154], v[8:9], s[20:21]
	v_add_f64 v[179:180], v[24:25], v[159:160]
	v_add_f64 v[161:162], v[26:27], v[161:162]
	;; [unrolled: 1-line block ×4, first 2 shown]
	v_add_f64 v[171:172], v[54:55], -v[46:47]
	v_add_f64 v[173:174], v[52:53], -v[44:45]
	v_mul_f64 v[109:110], v[12:13], s[24:25]
	v_mul_f64 v[119:120], v[14:15], s[24:25]
	v_add_f64 v[16:17], v[141:142], v[16:17]
	v_add_f64 v[18:19], v[143:144], v[18:19]
	;; [unrolled: 1-line block ×4, first 2 shown]
	v_fma_f64 v[143:144], v[72:73], s[16:17], v[133:134]
	v_add_f64 v[147:148], v[26:27], v[151:152]
	v_fma_f64 v[151:152], v[77:78], s[16:17], -v[135:136]
	v_mul_f64 v[141:142], v[8:9], s[18:19]
	v_mul_f64 v[145:146], v[10:11], s[18:19]
	v_fma_f64 v[181:182], v[72:73], s[6:7], -v[4:5]
	v_fma_f64 v[183:184], v[77:78], s[6:7], v[6:7]
	v_mul_f64 v[8:9], v[8:9], s[24:25]
	v_mul_f64 v[10:11], v[10:11], s[24:25]
	v_fma_f64 v[4:5], v[72:73], s[6:7], v[4:5]
	v_fma_f64 v[6:7], v[77:78], s[6:7], -v[6:7]
	v_mul_f64 v[125:126], v[12:13], s[34:35]
	v_mul_f64 v[127:128], v[14:15], s[34:35]
	v_add_f64 v[165:166], v[165:166], v[163:164]
	v_add_f64 v[167:168], v[167:168], v[155:156]
	v_fma_f64 v[197:198], v[111:112], s[6:7], v[153:154]
	v_fma_f64 v[199:200], v[113:114], s[6:7], -v[157:158]
	v_mul_f64 v[159:160], v[12:13], s[26:27]
	v_mul_f64 v[163:164], v[14:15], s[26:27]
	v_add_f64 v[81:82], v[52:53], v[44:45]
	v_add_f64 v[83:84], v[54:55], v[46:47]
	v_mul_f64 v[115:116], v[171:172], s[26:27]
	v_add_f64 v[189:190], v[143:144], v[149:150]
	v_mul_f64 v[117:118], v[173:174], s[26:27]
	v_add_f64 v[191:192], v[151:152], v[147:148]
	v_fma_f64 v[193:194], v[111:112], s[4:5], v[141:142]
	v_fma_f64 v[195:196], v[113:114], s[4:5], -v[145:146]
	v_mul_f64 v[147:148], v[12:13], s[20:21]
	v_mul_f64 v[151:152], v[14:15], s[20:21]
	v_add_f64 v[179:180], v[181:182], v[179:180]
	v_add_f64 v[181:182], v[183:184], v[161:162]
	v_fma_f64 v[183:184], v[111:112], s[10:11], -v[8:9]
	v_fma_f64 v[201:202], v[113:114], s[10:11], v[10:11]
	v_mul_f64 v[12:13], v[12:13], s[18:19]
	v_mul_f64 v[14:15], v[14:15], s[18:19]
	v_add_f64 v[0:1], v[4:5], v[0:1]
	v_add_f64 v[2:3], v[6:7], v[2:3]
	v_fma_f64 v[4:5], v[111:112], s[10:11], v[8:9]
	v_fma_f64 v[6:7], v[113:114], s[10:11], -v[10:11]
	v_fma_f64 v[175:176], v[103:104], s[10:11], v[109:110]
	v_fma_f64 v[177:178], v[105:106], s[10:11], -v[119:120]
	;; [unrolled: 2-line block ×3, first 2 shown]
	v_mul_f64 v[143:144], v[171:172], s[28:29]
	v_mul_f64 v[149:150], v[173:174], s[28:29]
	;; [unrolled: 1-line block ×4, first 2 shown]
	v_add_f64 v[8:9], v[193:194], v[189:190]
	v_add_f64 v[10:11], v[195:196], v[191:192]
	v_fma_f64 v[189:190], v[103:104], s[6:7], v[147:148]
	v_fma_f64 v[191:192], v[105:106], s[6:7], -v[151:152]
	v_add_f64 v[193:194], v[197:198], v[165:166]
	v_add_f64 v[195:196], v[199:200], v[167:168]
	v_fma_f64 v[197:198], v[103:104], s[16:17], v[159:160]
	v_fma_f64 v[199:200], v[105:106], s[16:17], -v[163:164]
	v_mul_f64 v[165:166], v[171:172], s[18:19]
	v_mul_f64 v[167:168], v[173:174], s[18:19]
	v_add_f64 v[179:180], v[183:184], v[179:180]
	v_add_f64 v[181:182], v[201:202], v[181:182]
	v_fma_f64 v[183:184], v[103:104], s[4:5], -v[12:13]
	v_fma_f64 v[201:202], v[105:106], s[4:5], v[14:15]
	v_mul_f64 v[171:172], v[171:172], s[22:23]
	v_mul_f64 v[173:174], v[173:174], s[22:23]
	v_add_f64 v[0:1], v[4:5], v[0:1]
	v_add_f64 v[2:3], v[6:7], v[2:3]
	v_fma_f64 v[4:5], v[103:104], s[4:5], v[12:13]
	v_fma_f64 v[6:7], v[105:106], s[4:5], -v[14:15]
	v_add_f64 v[12:13], v[175:176], v[16:17]
	v_add_f64 v[14:15], v[177:178], v[18:19]
	v_fma_f64 v[16:17], v[81:82], s[16:17], v[115:116]
	v_fma_f64 v[18:19], v[83:84], s[16:17], -v[117:118]
	;; [unrolled: 4-line block ×5, first 2 shown]
	v_add_f64 v[179:180], v[183:184], v[179:180]
	v_add_f64 v[181:182], v[201:202], v[181:182]
	v_fma_f64 v[183:184], v[81:82], s[8:9], -v[171:172]
	v_fma_f64 v[197:198], v[83:84], s[8:9], v[173:174]
	v_add_f64 v[199:200], v[4:5], v[0:1]
	v_add_f64 v[201:202], v[6:7], v[2:3]
	v_fma_f64 v[171:172], v[81:82], s[8:9], v[171:172]
	v_fma_f64 v[173:174], v[83:84], s[8:9], -v[173:174]
	v_add_f64 v[0:1], v[16:17], v[12:13]
	v_add_f64 v[2:3], v[18:19], v[14:15]
	s_barrier
	v_add_f64 v[4:5], v[175:176], v[20:21]
	v_add_f64 v[6:7], v[177:178], v[22:23]
	buffer_gl0_inv
	v_add_f64 v[8:9], v[185:186], v[8:9]
	v_add_f64 v[10:11], v[187:188], v[10:11]
	;; [unrolled: 1-line block ×8, first 2 shown]
	v_mul_lo_u16 v171, v170, 11
	s_and_saveexec_b32 s18, vcc_lo
	s_cbranch_execz .LBB0_7
; %bb.6:
	v_add_f64 v[50:51], v[26:27], v[50:51]
	v_add_f64 v[48:49], v[24:25], v[48:49]
	v_mul_f64 v[172:173], v[79:80], s[6:7]
	v_mul_f64 v[174:175], v[74:75], s[4:5]
	;; [unrolled: 1-line block ×18, first 2 shown]
	v_add_f64 v[50:51], v[50:51], v[58:59]
	v_add_f64 v[48:49], v[48:49], v[56:57]
	v_mul_f64 v[56:57], v[79:80], s[10:11]
	v_mul_f64 v[58:59], v[74:75], s[10:11]
	v_add_f64 v[70:71], v[70:71], v[172:173]
	v_add_f64 v[93:94], v[93:94], v[178:179]
	v_add_f64 v[89:90], v[176:177], -v[89:90]
	v_add_f64 v[107:108], v[107:108], v[182:183]
	v_add_f64 v[97:98], v[180:181], -v[97:98]
	v_add_f64 v[72:73], v[72:73], -v[137:138]
	v_add_f64 v[77:78], v[139:140], v[77:78]
	v_add_f64 v[95:96], v[188:189], -v[95:96]
	v_add_f64 v[101:102], v[101:102], v[190:191]
	v_add_f64 v[50:51], v[50:51], v[66:67]
	;; [unrolled: 1-line block ×3, first 2 shown]
	v_mul_f64 v[64:65], v[74:75], s[6:7]
	v_mul_f64 v[66:67], v[79:80], s[8:9]
	;; [unrolled: 1-line block ×4, first 2 shown]
	v_add_f64 v[56:57], v[131:132], v[56:57]
	v_add_f64 v[58:59], v[58:59], -v[129:130]
	v_add_f64 v[50:51], v[50:51], v[62:63]
	v_add_f64 v[48:49], v[48:49], v[60:61]
	v_add_f64 v[64:65], v[64:65], -v[68:69]
	v_add_f64 v[66:67], v[123:124], v[66:67]
	v_add_f64 v[79:80], v[99:100], v[79:80]
	v_add_f64 v[68:69], v[174:175], -v[85:86]
	v_add_f64 v[74:75], v[74:75], -v[121:122]
	v_mul_f64 v[60:61], v[111:112], s[8:9]
	v_mul_f64 v[62:63], v[113:114], s[8:9]
	;; [unrolled: 1-line block ×4, first 2 shown]
	v_add_f64 v[56:57], v[26:27], v[56:57]
	v_add_f64 v[58:59], v[24:25], v[58:59]
	v_mul_f64 v[85:86], v[103:104], s[16:17]
	v_mul_f64 v[99:100], v[105:106], s[16:17]
	v_add_f64 v[121:122], v[145:146], v[194:195]
	v_add_f64 v[123:124], v[192:193], -v[141:142]
	v_add_f64 v[50:51], v[50:51], v[54:55]
	v_add_f64 v[48:49], v[48:49], v[52:53]
	;; [unrolled: 1-line block ×6, first 2 shown]
	v_mul_f64 v[52:53], v[103:104], s[6:7]
	v_add_f64 v[103:104], v[135:136], v[186:187]
	v_add_f64 v[68:69], v[24:25], v[68:69]
	v_mul_f64 v[54:55], v[105:106], s[6:7]
	v_add_f64 v[105:106], v[184:185], -v[133:134]
	v_add_f64 v[24:25], v[24:25], v[74:75]
	v_add_f64 v[113:114], v[157:158], v[113:114]
	v_add_f64 v[111:112], v[111:112], -v[153:154]
	v_add_f64 v[62:63], v[91:92], v[62:63]
	v_add_f64 v[60:61], v[60:61], -v[87:88]
	v_add_f64 v[56:57], v[77:78], v[56:57]
	v_add_f64 v[58:59], v[72:73], v[58:59]
	v_mul_f64 v[70:71], v[81:82], s[6:7]
	v_mul_f64 v[74:75], v[83:84], s[6:7]
	;; [unrolled: 1-line block ×3, first 2 shown]
	v_add_f64 v[91:92], v[196:197], -v[109:110]
	v_add_f64 v[46:47], v[50:51], v[46:47]
	v_add_f64 v[44:45], v[48:49], v[44:45]
	;; [unrolled: 1-line block ×3, first 2 shown]
	v_mul_f64 v[48:49], v[81:82], s[16:17]
	v_add_f64 v[72:73], v[107:108], v[79:80]
	v_add_f64 v[26:27], v[93:94], v[26:27]
	v_mul_f64 v[50:51], v[83:84], s[16:17]
	v_add_f64 v[66:67], v[103:104], v[66:67]
	v_add_f64 v[68:69], v[97:98], v[68:69]
	v_mul_f64 v[79:80], v[83:84], s[4:5]
	v_add_f64 v[89:90], v[119:120], v[198:199]
	v_add_f64 v[24:25], v[105:106], v[24:25]
	v_add_f64 v[54:55], v[151:152], v[54:55]
	v_add_f64 v[87:88], v[200:201], -v[125:126]
	v_add_f64 v[52:53], v[52:53], -v[147:148]
	v_add_f64 v[56:57], v[113:114], v[56:57]
	v_add_f64 v[58:59], v[111:112], v[58:59]
	;; [unrolled: 1-line block ×4, first 2 shown]
	v_mul_f64 v[44:45], v[81:82], s[10:11]
	v_mul_f64 v[46:47], v[83:84], s[10:11]
	v_add_f64 v[81:82], v[163:164], v[99:100]
	v_add_f64 v[83:84], v[85:86], -v[159:160]
	v_add_f64 v[26:27], v[62:63], v[26:27]
	v_add_f64 v[60:61], v[60:61], v[64:65]
	;; [unrolled: 1-line block ×7, first 2 shown]
	v_add_f64 v[68:69], v[70:71], -v[143:144]
	v_add_f64 v[50:51], v[117:118], v[50:51]
	v_add_f64 v[48:49], v[48:49], -v[115:116]
	v_add_f64 v[64:65], v[149:150], v[74:75]
	v_add_f64 v[38:39], v[42:43], v[38:39]
	;; [unrolled: 1-line block ×4, first 2 shown]
	v_add_f64 v[42:43], v[77:78], -v[165:166]
	v_add_f64 v[56:57], v[81:82], v[56:57]
	v_add_f64 v[58:59], v[83:84], v[58:59]
	;; [unrolled: 1-line block ×8, first 2 shown]
	v_add_f64 v[44:45], v[44:45], -v[155:156]
	v_add_f64 v[52:53], v[52:53], v[24:25]
	v_add_f64 v[72:73], v[38:39], v[30:31]
	v_add_f64 v[74:75], v[36:37], v[28:29]
	v_add_f64 v[26:27], v[40:41], v[56:57]
	v_add_f64 v[24:25], v[42:43], v[58:59]
	v_add_f64 v[42:43], v[50:51], v[70:71]
	v_add_f64 v[40:41], v[48:49], v[60:61]
	v_add_f64 v[30:31], v[46:47], v[54:55]
	v_add_f64 v[38:39], v[64:65], v[66:67]
	v_add_f64 v[36:37], v[68:69], v[62:63]
	v_add_f64 v[28:29], v[44:45], v[52:53]
	v_mov_b32_e32 v44, 4
	v_lshlrev_b32_sdwa v44, v44, v171 dst_sel:DWORD dst_unused:UNUSED_PAD src0_sel:DWORD src1_sel:WORD_0
	v_add_f64 v[34:35], v[72:73], v[34:35]
	v_add_f64 v[32:33], v[74:75], v[32:33]
	ds_write_b128 v44, v[20:23] offset:80
	ds_write_b128 v44, v[16:19] offset:96
	;; [unrolled: 1-line block ×9, first 2 shown]
	ds_write_b128 v44, v[32:35]
	ds_write_b128 v44, v[0:3] offset:160
.LBB0_7:
	s_or_b32 exec_lo, exec_lo, s18
	v_and_b32_e32 v24, 0xff, v170
	s_load_dwordx4 s[4:7], s[2:3], 0x0
	s_waitcnt lgkmcnt(0)
	s_barrier
	buffer_gl0_inv
	v_mul_lo_u16 v24, 0x75, v24
	s_mov_b32 s2, 0x134454ff
	s_mov_b32 s3, 0x3fee6f0e
	;; [unrolled: 1-line block ×4, first 2 shown]
	v_lshrrev_b16 v24, 8, v24
	s_mov_b32 s10, 0x4755a5e
	s_mov_b32 s11, 0x3fe2cf23
	;; [unrolled: 1-line block ×4, first 2 shown]
	v_sub_nc_u16 v25, v170, v24
	s_mov_b32 s18, 0x372fe950
	s_mov_b32 s19, 0x3fd3c6ef
	v_lshrrev_b16 v25, 1, v25
	v_and_b32_e32 v25, 0x7f, v25
	v_add_nc_u16 v24, v25, v24
	v_lshrrev_b16 v93, 3, v24
	v_mul_lo_u16 v24, v93, 11
	v_sub_nc_u16 v24, v170, v24
	v_and_b32_e32 v94, 0xff, v24
	v_lshlrev_b32_e32 v24, 6, v94
	s_clause 0x3
	global_load_dwordx4 v[36:39], v24, s[0:1]
	global_load_dwordx4 v[32:35], v24, s[0:1] offset:16
	global_load_dwordx4 v[28:31], v24, s[0:1] offset:32
	;; [unrolled: 1-line block ×3, first 2 shown]
	ds_read_b128 v[40:43], v169 offset:880
	ds_read_b128 v[44:47], v169 offset:1760
	;; [unrolled: 1-line block ×4, first 2 shown]
	s_waitcnt vmcnt(3) lgkmcnt(3)
	v_mul_f64 v[56:57], v[42:43], v[38:39]
	s_waitcnt vmcnt(2) lgkmcnt(2)
	v_mul_f64 v[58:59], v[46:47], v[34:35]
	;; [unrolled: 2-line block ×4, first 2 shown]
	v_mul_f64 v[66:67], v[44:45], v[34:35]
	v_mul_f64 v[68:69], v[48:49], v[30:31]
	;; [unrolled: 1-line block ×4, first 2 shown]
	v_fma_f64 v[56:57], v[40:41], v[36:37], -v[56:57]
	v_fma_f64 v[44:45], v[44:45], v[32:33], -v[58:59]
	;; [unrolled: 1-line block ×4, first 2 shown]
	v_fma_f64 v[46:47], v[46:47], v[32:33], v[66:67]
	v_fma_f64 v[50:51], v[50:51], v[28:29], v[68:69]
	;; [unrolled: 1-line block ×4, first 2 shown]
	ds_read_b128 v[40:43], v169
	s_waitcnt lgkmcnt(0)
	s_barrier
	buffer_gl0_inv
	v_add_f64 v[60:61], v[44:45], v[48:49]
	v_add_f64 v[62:63], v[56:57], v[52:53]
	v_add_f64 v[77:78], v[56:57], -v[52:53]
	v_add_f64 v[64:65], v[46:47], v[50:51]
	v_add_f64 v[68:69], v[40:41], v[56:57]
	;; [unrolled: 1-line block ×4, first 2 shown]
	v_add_f64 v[70:71], v[58:59], -v[54:55]
	v_add_f64 v[72:73], v[46:47], -v[50:51]
	v_add_f64 v[83:84], v[58:59], -v[46:47]
	v_add_f64 v[58:59], v[46:47], -v[58:59]
	v_add_f64 v[79:80], v[52:53], -v[48:49]
	v_add_f64 v[85:86], v[54:55], -v[50:51]
	v_add_f64 v[81:82], v[48:49], -v[52:53]
	v_add_f64 v[87:88], v[50:51], -v[54:55]
	v_fma_f64 v[60:61], v[60:61], -0.5, v[40:41]
	v_fma_f64 v[40:41], v[62:63], -0.5, v[40:41]
	v_add_f64 v[62:63], v[44:45], -v[48:49]
	v_fma_f64 v[64:65], v[64:65], -0.5, v[42:43]
	v_fma_f64 v[42:43], v[66:67], -0.5, v[42:43]
	v_add_f64 v[66:67], v[56:57], -v[44:45]
	v_add_f64 v[56:57], v[44:45], -v[56:57]
	v_add_f64 v[44:45], v[68:69], v[44:45]
	v_add_f64 v[46:47], v[74:75], v[46:47]
	v_add_f64 v[58:59], v[58:59], v[87:88]
	v_fma_f64 v[68:69], v[70:71], s[2:3], v[60:61]
	v_fma_f64 v[60:61], v[70:71], s[8:9], v[60:61]
	;; [unrolled: 1-line block ×8, first 2 shown]
	v_add_f64 v[44:45], v[44:45], v[48:49]
	v_add_f64 v[46:47], v[46:47], v[50:51]
	;; [unrolled: 1-line block ×5, first 2 shown]
	v_fma_f64 v[48:49], v[72:73], s[10:11], v[68:69]
	v_fma_f64 v[50:51], v[72:73], s[16:17], v[60:61]
	;; [unrolled: 1-line block ×8, first 2 shown]
	v_add_f64 v[40:41], v[44:45], v[52:53]
	v_add_f64 v[42:43], v[46:47], v[54:55]
	v_fma_f64 v[44:45], v[66:67], s[18:19], v[48:49]
	v_fma_f64 v[48:49], v[66:67], s[18:19], v[50:51]
	;; [unrolled: 1-line block ×8, first 2 shown]
	v_mov_b32_e32 v60, 55
	v_mul_u32_u24_sdwa v60, v93, v60 dst_sel:DWORD dst_unused:UNUSED_PAD src0_sel:WORD_0 src1_sel:DWORD
	v_add_lshl_u32 v87, v60, v94, 4
	v_lshlrev_b32_e32 v60, 6, v170
	ds_write_b128 v87, v[40:43]
	ds_write_b128 v87, v[44:47] offset:176
	ds_write_b128 v87, v[52:55] offset:352
	;; [unrolled: 1-line block ×4, first 2 shown]
	s_waitcnt lgkmcnt(0)
	s_barrier
	buffer_gl0_inv
	s_clause 0x3
	global_load_dwordx4 v[52:55], v60, s[0:1] offset:704
	global_load_dwordx4 v[48:51], v60, s[0:1] offset:720
	;; [unrolled: 1-line block ×4, first 2 shown]
	ds_read_b128 v[56:59], v169 offset:880
	ds_read_b128 v[60:63], v169 offset:1760
	;; [unrolled: 1-line block ×4, first 2 shown]
	s_waitcnt vmcnt(3) lgkmcnt(3)
	v_mul_f64 v[72:73], v[58:59], v[54:55]
	s_waitcnt vmcnt(2) lgkmcnt(2)
	v_mul_f64 v[74:75], v[62:63], v[50:51]
	;; [unrolled: 2-line block ×3, first 2 shown]
	v_mul_f64 v[79:80], v[56:57], v[54:55]
	s_waitcnt vmcnt(0) lgkmcnt(0)
	v_mul_f64 v[81:82], v[70:71], v[42:43]
	v_mul_f64 v[83:84], v[60:61], v[50:51]
	;; [unrolled: 1-line block ×4, first 2 shown]
	v_fma_f64 v[72:73], v[56:57], v[52:53], -v[72:73]
	v_fma_f64 v[60:61], v[60:61], v[48:49], -v[74:75]
	;; [unrolled: 1-line block ×3, first 2 shown]
	v_fma_f64 v[74:75], v[58:59], v[52:53], v[79:80]
	v_fma_f64 v[68:69], v[68:69], v[40:41], -v[81:82]
	v_fma_f64 v[62:63], v[62:63], v[48:49], v[83:84]
	v_fma_f64 v[66:67], v[66:67], v[44:45], v[85:86]
	;; [unrolled: 1-line block ×3, first 2 shown]
	ds_read_b128 v[56:59], v169
	v_add_f64 v[77:78], v[60:61], v[64:65]
	v_add_f64 v[79:80], v[72:73], v[68:69]
	v_add_f64 v[94:95], v[72:73], -v[68:69]
	v_add_f64 v[81:82], v[62:63], v[66:67]
	v_add_f64 v[83:84], v[74:75], v[70:71]
	s_waitcnt lgkmcnt(0)
	v_add_f64 v[85:86], v[56:57], v[72:73]
	v_add_f64 v[88:89], v[74:75], -v[70:71]
	v_add_f64 v[90:91], v[62:63], -v[66:67]
	v_add_f64 v[92:93], v[58:59], v[74:75]
	v_add_f64 v[96:97], v[68:69], -v[64:65]
	v_add_f64 v[98:99], v[64:65], -v[68:69]
	;; [unrolled: 1-line block ×6, first 2 shown]
	v_fma_f64 v[77:78], v[77:78], -0.5, v[56:57]
	v_fma_f64 v[56:57], v[79:80], -0.5, v[56:57]
	v_add_f64 v[79:80], v[60:61], -v[64:65]
	v_fma_f64 v[81:82], v[81:82], -0.5, v[58:59]
	v_fma_f64 v[58:59], v[83:84], -0.5, v[58:59]
	v_add_f64 v[83:84], v[72:73], -v[60:61]
	v_add_f64 v[72:73], v[60:61], -v[72:73]
	v_add_f64 v[60:61], v[85:86], v[60:61]
	v_add_f64 v[62:63], v[92:93], v[62:63]
	v_fma_f64 v[85:86], v[88:89], s[2:3], v[77:78]
	v_fma_f64 v[77:78], v[88:89], s[8:9], v[77:78]
	;; [unrolled: 1-line block ×8, first 2 shown]
	v_add_f64 v[83:84], v[83:84], v[96:97]
	v_add_f64 v[96:97], v[72:73], v[98:99]
	;; [unrolled: 1-line block ×6, first 2 shown]
	v_fma_f64 v[64:65], v[90:91], s[10:11], v[85:86]
	v_fma_f64 v[66:67], v[90:91], s[16:17], v[77:78]
	;; [unrolled: 1-line block ×8, first 2 shown]
	v_add_f64 v[56:57], v[60:61], v[68:69]
	v_add_f64 v[58:59], v[62:63], v[70:71]
	v_fma_f64 v[72:73], v[83:84], s[18:19], v[64:65]
	v_fma_f64 v[60:61], v[83:84], s[18:19], v[66:67]
	;; [unrolled: 1-line block ×8, first 2 shown]
	ds_write_b128 v169, v[56:59]
	ds_write_b128 v169, v[72:75] offset:880
	ds_write_b128 v169, v[68:71] offset:1760
	;; [unrolled: 1-line block ×4, first 2 shown]
	s_waitcnt lgkmcnt(0)
	s_barrier
	buffer_gl0_inv
	s_and_saveexec_b32 s1, vcc_lo
	s_cbranch_execz .LBB0_9
; %bb.8:
	v_add_co_u32 v104, s0, s14, v169
	v_add_co_ci_u32_e64 v112, null, s15, 0, s0
	v_add_co_u32 v77, s0, 0x1000, v104
	v_add_co_ci_u32_e64 v78, s0, 0, v112, s0
	v_add_co_u32 v85, s0, 0x1130, v104
	v_add_co_ci_u32_e64 v86, s0, 0, v112, s0
	v_add_co_u32 v116, s0, 0x1800, v104
	s_clause 0x1
	global_load_dwordx4 v[77:80], v[77:78], off offset:304
	global_load_dwordx4 v[81:84], v[85:86], off offset:400
	v_add_co_ci_u32_e64 v117, s0, 0, v112, s0
	s_clause 0x3
	global_load_dwordx4 v[88:91], v[85:86], off offset:800
	global_load_dwordx4 v[92:95], v[85:86], off offset:1200
	global_load_dwordx4 v[96:99], v[85:86], off offset:1600
	global_load_dwordx4 v[100:103], v[85:86], off offset:2000
	v_add_co_u32 v85, s0, 0x2000, v104
	s_clause 0x1
	global_load_dwordx4 v[104:107], v[116:117], off offset:656
	global_load_dwordx4 v[108:111], v[116:117], off offset:1056
	v_add_co_ci_u32_e64 v86, s0, 0, v112, s0
	s_clause 0x2
	global_load_dwordx4 v[112:115], v[116:117], off offset:1456
	global_load_dwordx4 v[116:119], v[116:117], off offset:1856
	;; [unrolled: 1-line block ×3, first 2 shown]
	ds_read_b128 v[124:127], v169
	ds_read_b128 v[128:131], v169 offset:400
	ds_read_b128 v[132:135], v169 offset:800
	;; [unrolled: 1-line block ×10, first 2 shown]
	s_waitcnt vmcnt(10) lgkmcnt(10)
	v_mul_f64 v[85:86], v[126:127], v[79:80]
	v_mul_f64 v[79:80], v[124:125], v[79:80]
	s_waitcnt vmcnt(9) lgkmcnt(9)
	v_mul_f64 v[172:173], v[130:131], v[83:84]
	v_mul_f64 v[174:175], v[128:129], v[83:84]
	;; [unrolled: 3-line block ×11, first 2 shown]
	v_fma_f64 v[83:84], v[124:125], v[77:78], -v[85:86]
	v_fma_f64 v[85:86], v[126:127], v[77:78], v[79:80]
	v_fma_f64 v[77:78], v[128:129], v[81:82], -v[172:173]
	v_fma_f64 v[79:80], v[130:131], v[81:82], v[174:175]
	;; [unrolled: 2-line block ×11, first 2 shown]
	ds_write_b128 v169, v[83:86]
	ds_write_b128 v169, v[77:80] offset:400
	ds_write_b128 v169, v[122:125] offset:800
	;; [unrolled: 1-line block ×10, first 2 shown]
.LBB0_9:
	s_or_b32 exec_lo, exec_lo, s1
	s_waitcnt lgkmcnt(0)
	s_barrier
	buffer_gl0_inv
	s_and_saveexec_b32 s0, vcc_lo
	s_cbranch_execz .LBB0_11
; %bb.10:
	ds_read_b128 v[56:59], v169
	ds_read_b128 v[72:75], v169 offset:400
	ds_read_b128 v[68:71], v169 offset:800
	;; [unrolled: 1-line block ×10, first 2 shown]
.LBB0_11:
	s_or_b32 exec_lo, exec_lo, s0
	s_waitcnt lgkmcnt(0)
	s_barrier
	buffer_gl0_inv
	s_and_saveexec_b32 s33, vcc_lo
	s_cbranch_execz .LBB0_13
; %bb.12:
	v_add_f64 v[88:89], v[72:73], -v[0:1]
	v_add_f64 v[90:91], v[74:75], -v[2:3]
	s_mov_b32 s16, 0xfd768dbf
	s_mov_b32 s17, 0xbfd207e7
	v_add_f64 v[94:95], v[68:69], -v[4:5]
	v_add_f64 v[96:97], v[74:75], v[2:3]
	v_add_f64 v[98:99], v[70:71], -v[6:7]
	v_add_f64 v[100:101], v[72:73], v[0:1]
	s_mov_b32 s22, 0xbb3a28a1
	s_mov_b32 s18, 0xf8bb580b
	;; [unrolled: 1-line block ×6, first 2 shown]
	v_add_f64 v[106:107], v[64:65], -v[8:9]
	v_add_f64 v[110:111], v[70:71], v[6:7]
	v_add_f64 v[114:115], v[66:67], -v[10:11]
	v_add_f64 v[116:117], v[68:69], v[4:5]
	s_mov_b32 s24, 0x43842ef
	s_mov_b32 s10, 0x7f775887
	;; [unrolled: 1-line block ×4, first 2 shown]
	v_mul_f64 v[102:103], v[88:89], s[16:17]
	v_mul_f64 v[104:105], v[90:91], s[16:17]
	;; [unrolled: 1-line block ×3, first 2 shown]
	s_mov_b32 s11, 0xbfe4f49e
	v_mul_f64 v[118:119], v[94:95], s[18:19]
	s_mov_b32 s3, 0x3feaeb8c
	v_mul_f64 v[120:121], v[98:99], s[18:19]
	s_mov_b32 s29, 0x3fefac9e
	s_mov_b32 s28, s24
	v_add_f64 v[92:93], v[60:61], -v[12:13]
	v_add_f64 v[108:109], v[66:67], v[10:11]
	v_add_f64 v[126:127], v[62:63], -v[14:15]
	v_add_f64 v[128:129], v[64:65], v[8:9]
	v_mul_f64 v[138:139], v[90:91], s[22:23]
	v_mul_f64 v[134:135], v[106:107], s[22:23]
	;; [unrolled: 1-line block ×6, first 2 shown]
	s_mov_b32 s8, 0x640f44db
	s_mov_b32 s9, 0xbfc2375f
	;; [unrolled: 1-line block ×3, first 2 shown]
	v_fma_f64 v[122:123], v[96:97], s[0:1], v[102:103]
	v_fma_f64 v[124:125], v[100:101], s[0:1], -v[104:105]
	v_fma_f64 v[102:103], v[96:97], s[0:1], -v[102:103]
	v_fma_f64 v[104:105], v[100:101], s[0:1], v[104:105]
	v_fma_f64 v[140:141], v[110:111], s[2:3], v[118:119]
	v_fma_f64 v[118:119], v[110:111], s[2:3], -v[118:119]
	v_fma_f64 v[142:143], v[116:117], s[2:3], -v[120:121]
	v_fma_f64 v[120:121], v[116:117], s[2:3], v[120:121]
	v_fma_f64 v[160:161], v[96:97], s[10:11], v[130:131]
	s_mov_b32 s26, 0x8eee2c13
	s_mov_b32 s31, 0xbfe14ced
	;; [unrolled: 1-line block ×5, first 2 shown]
	v_add_f64 v[81:82], v[62:63], v[14:15]
	v_add_f64 v[112:113], v[22:23], -v[18:19]
	v_add_f64 v[85:86], v[60:61], v[12:13]
	v_add_f64 v[74:75], v[58:59], v[74:75]
	;; [unrolled: 1-line block ×3, first 2 shown]
	v_mul_f64 v[144:145], v[92:93], s[26:27]
	v_mul_f64 v[148:149], v[126:127], s[26:27]
	v_mul_f64 v[154:155], v[106:107], s[30:31]
	v_add_f64 v[122:123], v[58:59], v[122:123]
	v_add_f64 v[124:125], v[56:57], v[124:125]
	;; [unrolled: 1-line block ×4, first 2 shown]
	v_mul_f64 v[164:165], v[98:99], s[28:29]
	v_fma_f64 v[172:173], v[108:109], s[10:11], v[134:135]
	v_fma_f64 v[174:175], v[128:129], s[10:11], -v[136:137]
	v_fma_f64 v[134:135], v[108:109], s[10:11], -v[134:135]
	;; [unrolled: 1-line block ×4, first 2 shown]
	v_fma_f64 v[136:137], v[128:129], s[10:11], v[136:137]
	v_fma_f64 v[138:139], v[100:101], s[10:11], v[138:139]
	v_mul_f64 v[178:179], v[98:99], s[34:35]
	v_fma_f64 v[180:181], v[96:97], s[8:9], v[156:157]
	v_fma_f64 v[182:183], v[110:111], s[8:9], v[158:159]
	v_add_f64 v[160:161], v[58:59], v[160:161]
	v_fma_f64 v[188:189], v[100:101], s[8:9], -v[166:167]
	s_mov_b32 s20, 0xd9c712b6
	s_mov_b32 s21, 0x3fda9628
	v_add_f64 v[79:80], v[20:21], v[16:17]
	v_mul_f64 v[146:147], v[112:113], s[24:25]
	v_fma_f64 v[184:185], v[81:82], s[20:21], v[144:145]
	v_add_f64 v[122:123], v[140:141], v[122:123]
	v_add_f64 v[124:125], v[142:143], v[124:125]
	;; [unrolled: 1-line block ×4, first 2 shown]
	v_mul_f64 v[120:121], v[94:95], s[34:35]
	v_mul_f64 v[140:141], v[106:107], s[26:27]
	;; [unrolled: 1-line block ×3, first 2 shown]
	v_fma_f64 v[186:187], v[85:86], s[20:21], -v[148:149]
	v_fma_f64 v[144:145], v[81:82], s[20:21], -v[144:145]
	;; [unrolled: 1-line block ×4, first 2 shown]
	v_add_f64 v[130:131], v[58:59], v[130:131]
	v_add_f64 v[70:71], v[74:75], v[70:71]
	v_fma_f64 v[74:75], v[85:86], s[20:21], v[148:149]
	v_add_f64 v[138:139], v[56:57], v[138:139]
	v_add_f64 v[68:69], v[72:73], v[68:69]
	;; [unrolled: 1-line block ×5, first 2 shown]
	v_add_f64 v[83:84], v[20:21], -v[16:17]
	v_mul_f64 v[152:153], v[92:93], s[16:17]
	v_mul_f64 v[162:163], v[126:127], s[16:17]
	v_add_f64 v[122:123], v[172:173], v[122:123]
	v_add_f64 v[124:125], v[174:175], v[124:125]
	;; [unrolled: 1-line block ×3, first 2 shown]
	v_fma_f64 v[134:135], v[116:117], s[8:9], v[164:165]
	v_add_f64 v[104:105], v[136:137], v[104:105]
	v_fma_f64 v[136:137], v[110:111], s[0:1], v[120:121]
	v_fma_f64 v[164:165], v[108:109], s[2:3], v[154:155]
	v_fma_f64 v[174:175], v[116:117], s[0:1], -v[178:179]
	v_fma_f64 v[172:173], v[79:80], s[8:9], -v[146:147]
	;; [unrolled: 1-line block ×3, first 2 shown]
	v_add_f64 v[77:78], v[22:23], v[18:19]
	v_add_f64 v[130:131], v[158:159], v[130:131]
	;; [unrolled: 1-line block ×3, first 2 shown]
	v_fma_f64 v[120:121], v[110:111], s[0:1], -v[120:121]
	v_mul_f64 v[118:119], v[114:115], s[30:31]
	v_add_f64 v[64:65], v[68:69], v[64:65]
	v_add_f64 v[176:177], v[56:57], v[176:177]
	v_mul_f64 v[150:151], v[83:84], s[26:27]
	v_fma_f64 v[68:69], v[81:82], s[0:1], -v[152:153]
	v_mul_f64 v[132:133], v[83:84], s[24:25]
	v_add_f64 v[122:123], v[184:185], v[122:123]
	v_fma_f64 v[184:185], v[85:86], s[0:1], -v[162:163]
	v_add_f64 v[102:103], v[144:145], v[102:103]
	v_fma_f64 v[144:145], v[79:80], s[8:9], v[146:147]
	v_fma_f64 v[146:147], v[96:97], s[8:9], -v[156:157]
	v_add_f64 v[134:135], v[134:135], v[138:139]
	v_fma_f64 v[138:139], v[100:101], s[8:9], v[166:167]
	v_fma_f64 v[156:157], v[108:109], s[20:21], v[140:141]
	v_add_f64 v[136:137], v[136:137], v[148:149]
	v_add_f64 v[158:159], v[164:165], v[160:161]
	v_mul_f64 v[164:165], v[126:127], s[30:31]
	v_fma_f64 v[166:167], v[128:129], s[20:21], -v[142:143]
	v_add_f64 v[174:175], v[174:175], v[180:181]
	v_mul_f64 v[180:181], v[112:113], s[26:27]
	s_mov_b32 s27, 0xbfed1bb4
	v_fma_f64 v[148:149], v[81:82], s[0:1], v[152:153]
	v_add_f64 v[70:71], v[154:155], v[130:131]
	v_fma_f64 v[130:131], v[85:86], s[0:1], v[162:163]
	v_fma_f64 v[152:153], v[116:117], s[0:1], v[178:179]
	v_add_f64 v[62:63], v[66:67], v[62:63]
	v_add_f64 v[60:61], v[64:65], v[60:61]
	v_mul_f64 v[64:65], v[90:91], s[30:31]
	v_mul_f64 v[66:67], v[90:91], s[26:27]
	v_fma_f64 v[160:161], v[77:78], s[20:21], v[150:151]
	v_fma_f64 v[90:91], v[77:78], s[20:21], -v[150:151]
	v_fma_f64 v[142:143], v[128:129], s[20:21], v[142:143]
	v_add_f64 v[146:147], v[58:59], v[146:147]
	v_fma_f64 v[140:141], v[108:109], s[20:21], -v[140:141]
	v_add_f64 v[138:139], v[56:57], v[138:139]
	v_add_f64 v[74:75], v[74:75], v[104:105]
	;; [unrolled: 1-line block ×3, first 2 shown]
	v_mul_f64 v[156:157], v[88:89], s[26:27]
	v_fma_f64 v[162:163], v[85:86], s[2:3], -v[164:165]
	v_mul_f64 v[88:89], v[88:89], s[30:31]
	v_add_f64 v[166:167], v[166:167], v[174:175]
	v_fma_f64 v[174:175], v[79:80], s[20:21], -v[180:181]
	v_mul_f64 v[104:105], v[92:93], s[30:31]
	v_fma_f64 v[182:183], v[128:129], s[2:3], -v[118:119]
	v_add_f64 v[68:69], v[68:69], v[70:71]
	v_fma_f64 v[70:71], v[79:80], s[20:21], v[180:181]
	v_fma_f64 v[118:119], v[128:129], s[2:3], v[118:119]
	v_add_f64 v[22:23], v[62:63], v[22:23]
	v_add_f64 v[20:21], v[60:61], v[20:21]
	v_fma_f64 v[60:61], v[100:101], s[2:3], v[64:65]
	v_fma_f64 v[62:63], v[100:101], s[20:21], v[66:67]
	v_fma_f64 v[66:67], v[100:101], s[20:21], -v[66:67]
	v_fma_f64 v[64:65], v[100:101], s[2:3], -v[64:65]
	v_mul_f64 v[100:101], v[106:107], s[34:35]
	v_add_f64 v[120:121], v[120:121], v[146:147]
	v_mul_f64 v[146:147], v[94:95], s[22:23]
	v_add_f64 v[138:139], v[152:153], v[138:139]
	v_mul_f64 v[94:95], v[94:95], s[26:27]
	v_mul_f64 v[152:153], v[98:99], s[22:23]
	v_fma_f64 v[150:151], v[96:97], s[20:21], -v[156:157]
	v_mul_f64 v[98:99], v[98:99], s[26:27]
	v_fma_f64 v[156:157], v[96:97], s[20:21], v[156:157]
	v_add_f64 v[162:163], v[162:163], v[166:167]
	v_fma_f64 v[166:167], v[96:97], s[2:3], -v[88:89]
	v_fma_f64 v[88:89], v[96:97], s[2:3], v[88:89]
	v_mul_f64 v[106:107], v[106:107], s[24:25]
	v_add_f64 v[176:177], v[190:191], v[176:177]
	v_fma_f64 v[154:155], v[81:82], s[2:3], v[104:105]
	v_fma_f64 v[104:105], v[81:82], s[2:3], -v[104:105]
	v_add_f64 v[18:19], v[22:23], v[18:19]
	v_add_f64 v[16:17], v[20:21], v[16:17]
	;; [unrolled: 1-line block ×6, first 2 shown]
	v_mul_f64 v[64:65], v[92:93], s[28:29]
	v_add_f64 v[120:121], v[140:141], v[120:121]
	v_fma_f64 v[140:141], v[85:86], s[2:3], v[164:165]
	v_add_f64 v[96:97], v[142:143], v[138:139]
	v_fma_f64 v[142:143], v[110:111], s[10:11], -v[146:147]
	v_fma_f64 v[178:179], v[110:111], s[20:21], -v[94:95]
	v_add_f64 v[150:151], v[58:59], v[150:151]
	v_mul_f64 v[138:139], v[114:115], s[34:35]
	v_mul_f64 v[114:115], v[114:115], s[24:25]
	v_fma_f64 v[180:181], v[116:117], s[20:21], v[98:99]
	v_add_f64 v[166:167], v[58:59], v[166:167]
	v_fma_f64 v[164:165], v[116:117], s[10:11], v[152:153]
	v_fma_f64 v[60:61], v[110:111], s[10:11], v[146:147]
	v_add_f64 v[62:63], v[58:59], v[156:157]
	v_fma_f64 v[146:147], v[116:117], s[10:11], -v[152:153]
	v_fma_f64 v[94:95], v[110:111], s[20:21], v[94:95]
	v_add_f64 v[58:59], v[58:59], v[88:89]
	v_fma_f64 v[88:89], v[116:117], s[20:21], -v[98:99]
	v_fma_f64 v[110:111], v[108:109], s[0:1], -v[100:101]
	v_mul_f64 v[92:93], v[92:93], s[22:23]
	v_add_f64 v[14:15], v[18:19], v[14:15]
	v_add_f64 v[12:13], v[16:17], v[12:13]
	v_mul_f64 v[98:99], v[126:127], s[28:29]
	v_mul_f64 v[126:127], v[126:127], s[22:23]
	v_add_f64 v[118:119], v[118:119], v[134:135]
	v_mul_f64 v[134:135], v[83:84], s[22:23]
	v_add_f64 v[148:149], v[148:149], v[158:159]
	v_mul_f64 v[158:159], v[112:113], s[22:23]
	v_add_f64 v[116:117], v[142:143], v[150:151]
	v_fma_f64 v[150:151], v[108:109], s[8:9], -v[106:107]
	v_fma_f64 v[156:157], v[128:129], s[8:9], v[114:115]
	v_add_f64 v[16:17], v[180:181], v[20:21]
	v_add_f64 v[152:153], v[178:179], v[166:167]
	v_fma_f64 v[142:143], v[128:129], s[0:1], v[138:139]
	v_add_f64 v[18:19], v[164:165], v[22:23]
	v_fma_f64 v[20:21], v[108:109], s[0:1], v[100:101]
	v_add_f64 v[22:23], v[60:61], v[62:63]
	v_fma_f64 v[60:61], v[128:129], s[0:1], -v[138:139]
	v_add_f64 v[62:63], v[146:147], v[66:67]
	v_fma_f64 v[66:67], v[108:109], s[8:9], v[106:107]
	v_add_f64 v[58:59], v[94:95], v[58:59]
	v_fma_f64 v[94:95], v[128:129], s[8:9], -v[114:115]
	v_add_f64 v[56:57], v[88:89], v[56:57]
	v_fma_f64 v[106:107], v[81:82], s[8:9], -v[64:65]
	v_fma_f64 v[114:115], v[81:82], s[10:11], -v[92:93]
	v_add_f64 v[10:11], v[14:15], v[10:11]
	v_add_f64 v[8:9], v[12:13], v[8:9]
	v_mul_f64 v[88:89], v[83:84], s[18:19]
	v_mul_f64 v[100:101], v[112:113], s[18:19]
	;; [unrolled: 1-line block ×3, first 2 shown]
	v_add_f64 v[108:109], v[110:111], v[116:117]
	v_mul_f64 v[112:113], v[112:113], s[16:17]
	v_fma_f64 v[128:129], v[85:86], s[10:11], v[126:127]
	v_add_f64 v[12:13], v[156:157], v[16:17]
	v_add_f64 v[116:117], v[150:151], v[152:153]
	v_fma_f64 v[110:111], v[85:86], s[8:9], v[98:99]
	v_add_f64 v[14:15], v[142:143], v[18:19]
	v_add_f64 v[176:177], v[182:183], v[176:177]
	v_fma_f64 v[16:17], v[81:82], s[8:9], v[64:65]
	v_add_f64 v[18:19], v[20:21], v[22:23]
	v_fma_f64 v[20:21], v[85:86], s[8:9], -v[98:99]
	v_add_f64 v[22:23], v[60:61], v[62:63]
	v_fma_f64 v[60:61], v[81:82], s[10:11], v[92:93]
	v_add_f64 v[58:59], v[66:67], v[58:59]
	v_fma_f64 v[62:63], v[85:86], s[10:11], -v[126:127]
	v_add_f64 v[56:57], v[94:95], v[56:57]
	v_add_f64 v[66:67], v[104:105], v[120:121]
	;; [unrolled: 1-line block ×3, first 2 shown]
	v_fma_f64 v[64:65], v[77:78], s[10:11], -v[134:135]
	v_fma_f64 v[92:93], v[77:78], s[2:3], -v[88:89]
	v_fma_f64 v[96:97], v[79:80], s[2:3], v[100:101]
	v_fma_f64 v[98:99], v[77:78], s[0:1], -v[83:84]
	v_add_f64 v[94:95], v[106:107], v[108:109]
	v_add_f64 v[108:109], v[10:11], v[6:7]
	v_fma_f64 v[106:107], v[79:80], s[0:1], v[112:113]
	v_fma_f64 v[81:82], v[79:80], s[10:11], v[158:159]
	v_add_f64 v[104:105], v[114:115], v[116:117]
	v_add_f64 v[114:115], v[8:9], v[4:5]
	;; [unrolled: 1-line block ×5, first 2 shown]
	v_fma_f64 v[72:73], v[77:78], s[8:9], v[132:133]
	v_fma_f64 v[132:133], v[77:78], s[8:9], -v[132:133]
	v_add_f64 v[124:125], v[186:187], v[124:125]
	v_add_f64 v[176:177], v[184:185], v[176:177]
	v_fma_f64 v[130:131], v[77:78], s[10:11], v[134:135]
	v_add_f64 v[136:137], v[154:155], v[136:137]
	v_fma_f64 v[154:155], v[79:80], s[10:11], -v[158:159]
	v_fma_f64 v[88:89], v[77:78], s[2:3], v[88:89]
	v_add_f64 v[120:121], v[16:17], v[18:19]
	v_fma_f64 v[100:101], v[79:80], s[2:3], -v[100:101]
	v_add_f64 v[126:127], v[20:21], v[22:23]
	v_fma_f64 v[77:78], v[77:78], s[0:1], v[83:84]
	v_add_f64 v[83:84], v[60:61], v[58:59]
	v_fma_f64 v[79:80], v[79:80], s[0:1], -v[112:113]
	v_add_f64 v[112:113], v[62:63], v[56:57]
	v_add_f64 v[2:3], v[108:109], v[2:3]
	v_add_f64 v[58:59], v[92:93], v[94:95]
	v_add_f64 v[62:63], v[98:99], v[104:105]
	v_add_f64 v[0:1], v[114:115], v[0:1]
	v_add_f64 v[60:61], v[106:107], v[116:117]
	v_add_f64 v[56:57], v[96:97], v[110:111]
	v_add_f64 v[22:23], v[64:65], v[66:67]
	v_add_f64 v[20:21], v[81:82], v[85:86]
	v_add_f64 v[18:19], v[90:91], v[68:69]
	v_add_f64 v[16:17], v[70:71], v[118:119]
	v_add_f64 v[10:11], v[132:133], v[102:103]
	v_add_f64 v[8:9], v[144:145], v[74:75]
	v_add_f64 v[6:7], v[72:73], v[122:123]
	v_add_f64 v[4:5], v[172:173], v[124:125]
	v_add_f64 v[14:15], v[160:161], v[148:149]
	v_add_f64 v[12:13], v[174:175], v[176:177]
	v_add_f64 v[66:67], v[130:131], v[136:137]
	v_add_f64 v[64:65], v[154:155], v[162:163]
	v_add_f64 v[70:71], v[88:89], v[120:121]
	v_add_f64 v[68:69], v[100:101], v[126:127]
	v_add_f64 v[74:75], v[77:78], v[83:84]
	v_add_f64 v[72:73], v[79:80], v[112:113]
	v_mov_b32_e32 v77, 4
	v_lshlrev_b32_sdwa v77, v77, v171 dst_sel:DWORD dst_unused:UNUSED_PAD src0_sel:DWORD src1_sel:WORD_0
	ds_write_b128 v77, v[0:3]
	ds_write_b128 v77, v[60:63] offset:16
	ds_write_b128 v77, v[56:59] offset:32
	;; [unrolled: 1-line block ×10, first 2 shown]
.LBB0_13:
	s_or_b32 exec_lo, exec_lo, s33
	s_waitcnt lgkmcnt(0)
	s_barrier
	buffer_gl0_inv
	ds_read_b128 v[0:3], v169 offset:880
	ds_read_b128 v[4:7], v169 offset:1760
	;; [unrolled: 1-line block ×4, first 2 shown]
	s_mov_b32 s0, 0x134454ff
	s_mov_b32 s1, 0xbfee6f0e
	;; [unrolled: 1-line block ×10, first 2 shown]
	s_waitcnt lgkmcnt(3)
	v_mul_f64 v[16:17], v[38:39], v[2:3]
	s_waitcnt lgkmcnt(2)
	v_mul_f64 v[18:19], v[34:35], v[6:7]
	;; [unrolled: 2-line block ×3, first 2 shown]
	v_mul_f64 v[22:23], v[38:39], v[0:1]
	s_waitcnt lgkmcnt(0)
	v_mul_f64 v[38:39], v[26:27], v[14:15]
	v_mul_f64 v[34:35], v[34:35], v[4:5]
	;; [unrolled: 1-line block ×4, first 2 shown]
	v_fma_f64 v[16:17], v[36:37], v[0:1], v[16:17]
	v_fma_f64 v[4:5], v[32:33], v[4:5], v[18:19]
	;; [unrolled: 1-line block ×3, first 2 shown]
	v_fma_f64 v[18:19], v[36:37], v[2:3], -v[22:23]
	v_fma_f64 v[12:13], v[24:25], v[12:13], v[38:39]
	v_fma_f64 v[6:7], v[32:33], v[6:7], -v[34:35]
	v_fma_f64 v[10:11], v[28:29], v[10:11], -v[30:31]
	v_fma_f64 v[14:15], v[24:25], v[14:15], -v[26:27]
	ds_read_b128 v[0:3], v169
	s_waitcnt lgkmcnt(0)
	s_barrier
	buffer_gl0_inv
	v_add_f64 v[20:21], v[4:5], v[8:9]
	v_add_f64 v[22:23], v[16:17], v[12:13]
	v_add_f64 v[36:37], v[16:17], -v[12:13]
	v_add_f64 v[24:25], v[6:7], v[10:11]
	v_add_f64 v[26:27], v[18:19], v[14:15]
	;; [unrolled: 1-line block ×4, first 2 shown]
	v_add_f64 v[30:31], v[18:19], -v[14:15]
	v_add_f64 v[32:33], v[6:7], -v[10:11]
	;; [unrolled: 1-line block ×8, first 2 shown]
	v_fma_f64 v[20:21], v[20:21], -0.5, v[0:1]
	v_fma_f64 v[0:1], v[22:23], -0.5, v[0:1]
	v_add_f64 v[22:23], v[4:5], -v[8:9]
	v_fma_f64 v[24:25], v[24:25], -0.5, v[2:3]
	v_fma_f64 v[2:3], v[26:27], -0.5, v[2:3]
	v_add_f64 v[26:27], v[16:17], -v[4:5]
	v_add_f64 v[16:17], v[4:5], -v[16:17]
	v_add_f64 v[4:5], v[28:29], v[4:5]
	v_add_f64 v[6:7], v[34:35], v[6:7]
	;; [unrolled: 1-line block ×3, first 2 shown]
	v_fma_f64 v[28:29], v[30:31], s[0:1], v[20:21]
	v_fma_f64 v[20:21], v[30:31], s[2:3], v[20:21]
	;; [unrolled: 1-line block ×8, first 2 shown]
	v_add_f64 v[4:5], v[4:5], v[8:9]
	v_add_f64 v[6:7], v[6:7], v[10:11]
	;; [unrolled: 1-line block ×5, first 2 shown]
	v_fma_f64 v[8:9], v[32:33], s[8:9], v[28:29]
	v_fma_f64 v[10:11], v[32:33], s[10:11], v[20:21]
	v_fma_f64 v[20:21], v[30:31], s[8:9], v[34:35]
	v_fma_f64 v[28:29], v[30:31], s[10:11], v[0:1]
	v_fma_f64 v[30:31], v[22:23], s[10:11], v[64:65]
	v_fma_f64 v[32:33], v[36:37], s[10:11], v[66:67]
	v_fma_f64 v[34:35], v[36:37], s[8:9], v[2:3]
	v_fma_f64 v[22:23], v[22:23], s[8:9], v[24:25]
	v_add_f64 v[0:1], v[4:5], v[12:13]
	v_add_f64 v[2:3], v[6:7], v[14:15]
	v_fma_f64 v[4:5], v[26:27], s[16:17], v[8:9]
	v_fma_f64 v[8:9], v[26:27], s[16:17], v[10:11]
	v_fma_f64 v[12:13], v[16:17], s[16:17], v[20:21]
	v_fma_f64 v[16:17], v[16:17], s[16:17], v[28:29]
	v_fma_f64 v[6:7], v[38:39], s[16:17], v[30:31]
	v_fma_f64 v[14:15], v[18:19], s[16:17], v[32:33]
	v_fma_f64 v[18:19], v[18:19], s[16:17], v[34:35]
	v_fma_f64 v[10:11], v[38:39], s[16:17], v[22:23]
	ds_write_b128 v87, v[0:3]
	ds_write_b128 v87, v[4:7] offset:176
	ds_write_b128 v87, v[12:15] offset:352
	;; [unrolled: 1-line block ×4, first 2 shown]
	s_waitcnt lgkmcnt(0)
	s_barrier
	buffer_gl0_inv
	ds_read_b128 v[0:3], v169 offset:880
	ds_read_b128 v[4:7], v169 offset:1760
	;; [unrolled: 1-line block ×4, first 2 shown]
	s_waitcnt lgkmcnt(3)
	v_mul_f64 v[16:17], v[54:55], v[2:3]
	s_waitcnt lgkmcnt(2)
	v_mul_f64 v[18:19], v[50:51], v[6:7]
	;; [unrolled: 2-line block ×4, first 2 shown]
	v_mul_f64 v[26:27], v[50:51], v[4:5]
	v_mul_f64 v[28:29], v[46:47], v[8:9]
	;; [unrolled: 1-line block ×4, first 2 shown]
	v_fma_f64 v[16:17], v[52:53], v[0:1], v[16:17]
	v_fma_f64 v[4:5], v[48:49], v[4:5], v[18:19]
	;; [unrolled: 1-line block ×4, first 2 shown]
	v_fma_f64 v[6:7], v[48:49], v[6:7], -v[26:27]
	v_fma_f64 v[10:11], v[44:45], v[10:11], -v[28:29]
	;; [unrolled: 1-line block ×4, first 2 shown]
	ds_read_b128 v[0:3], v169
	v_add_f64 v[20:21], v[4:5], v[8:9]
	v_add_f64 v[22:23], v[16:17], v[12:13]
	v_add_f64 v[36:37], v[16:17], -v[12:13]
	v_add_f64 v[24:25], v[6:7], v[10:11]
	s_waitcnt lgkmcnt(0)
	v_add_f64 v[28:29], v[0:1], v[16:17]
	v_add_f64 v[26:27], v[18:19], v[14:15]
	;; [unrolled: 1-line block ×3, first 2 shown]
	v_add_f64 v[30:31], v[18:19], -v[14:15]
	v_add_f64 v[32:33], v[6:7], -v[10:11]
	;; [unrolled: 1-line block ×8, first 2 shown]
	v_fma_f64 v[20:21], v[20:21], -0.5, v[0:1]
	v_fma_f64 v[0:1], v[22:23], -0.5, v[0:1]
	v_add_f64 v[22:23], v[4:5], -v[8:9]
	v_fma_f64 v[24:25], v[24:25], -0.5, v[2:3]
	v_fma_f64 v[2:3], v[26:27], -0.5, v[2:3]
	v_add_f64 v[26:27], v[16:17], -v[4:5]
	v_add_f64 v[16:17], v[4:5], -v[16:17]
	v_add_f64 v[4:5], v[28:29], v[4:5]
	v_add_f64 v[6:7], v[34:35], v[6:7]
	;; [unrolled: 1-line block ×3, first 2 shown]
	v_fma_f64 v[28:29], v[30:31], s[0:1], v[20:21]
	v_fma_f64 v[20:21], v[30:31], s[2:3], v[20:21]
	;; [unrolled: 1-line block ×8, first 2 shown]
	v_add_f64 v[4:5], v[4:5], v[8:9]
	v_add_f64 v[6:7], v[6:7], v[10:11]
	;; [unrolled: 1-line block ×5, first 2 shown]
	v_fma_f64 v[8:9], v[32:33], s[8:9], v[28:29]
	v_fma_f64 v[10:11], v[32:33], s[10:11], v[20:21]
	;; [unrolled: 1-line block ×8, first 2 shown]
	v_add_f64 v[0:1], v[4:5], v[12:13]
	v_add_f64 v[2:3], v[6:7], v[14:15]
	v_fma_f64 v[4:5], v[26:27], s[16:17], v[8:9]
	v_fma_f64 v[8:9], v[26:27], s[16:17], v[10:11]
	;; [unrolled: 1-line block ×8, first 2 shown]
	ds_write_b128 v169, v[0:3]
	ds_write_b128 v169, v[4:7] offset:880
	ds_write_b128 v169, v[12:15] offset:1760
	;; [unrolled: 1-line block ×4, first 2 shown]
	s_waitcnt lgkmcnt(0)
	s_barrier
	buffer_gl0_inv
	s_and_b32 exec_lo, exec_lo, vcc_lo
	s_cbranch_execz .LBB0_15
; %bb.14:
	v_add_co_u32 v16, s0, s14, v169
	v_add_co_ci_u32_e64 v17, null, s15, 0, s0
	s_clause 0x3
	global_load_dwordx4 v[0:3], v169, s[14:15]
	global_load_dwordx4 v[4:7], v169, s[14:15] offset:400
	global_load_dwordx4 v[8:11], v169, s[14:15] offset:800
	;; [unrolled: 1-line block ×3, first 2 shown]
	v_add_co_u32 v40, vcc_lo, 0x800, v16
	v_add_co_ci_u32_e32 v41, vcc_lo, 0, v17, vcc_lo
	v_mad_u64_u32 v[44:45], null, s6, v76, 0
	s_clause 0x6
	global_load_dwordx4 v[16:19], v169, s[14:15] offset:1600
	global_load_dwordx4 v[20:23], v169, s[14:15] offset:2000
	global_load_dwordx4 v[24:27], v[40:41], off offset:352
	global_load_dwordx4 v[28:31], v[40:41], off offset:752
	;; [unrolled: 1-line block ×5, first 2 shown]
	v_mad_u64_u32 v[46:47], null, s4, v170, 0
	s_mul_i32 s2, s5, 0x190
	s_mul_hi_u32 s3, s4, 0x190
	s_mulk_i32 s4, 0x190
	s_add_i32 s3, s3, s2
	s_mov_b32 s0, 0xdca01dca
	s_mov_b32 s1, 0x3f6dca01
	v_mad_u64_u32 v[48:49], null, s7, v76, v[45:46]
	v_mad_u64_u32 v[49:50], null, s5, v170, v[47:48]
	v_mov_b32_e32 v45, v48
	v_lshlrev_b64 v[44:45], 4, v[44:45]
	v_mov_b32_e32 v47, v49
	v_lshlrev_b64 v[46:47], 4, v[46:47]
	v_add_co_u32 v44, vcc_lo, s12, v44
	v_add_co_ci_u32_e32 v45, vcc_lo, s13, v45, vcc_lo
	v_add_co_u32 v88, vcc_lo, v44, v46
	v_add_co_ci_u32_e32 v89, vcc_lo, v45, v47, vcc_lo
	ds_read_b128 v[44:47], v169
	ds_read_b128 v[48:51], v169 offset:400
	ds_read_b128 v[52:55], v169 offset:800
	;; [unrolled: 1-line block ×10, first 2 shown]
	v_add_co_u32 v90, vcc_lo, v88, s4
	v_add_co_ci_u32_e32 v91, vcc_lo, s3, v89, vcc_lo
	v_add_co_u32 v92, vcc_lo, v90, s4
	v_add_co_ci_u32_e32 v93, vcc_lo, s3, v91, vcc_lo
	;; [unrolled: 2-line block ×7, first 2 shown]
	s_waitcnt vmcnt(10) lgkmcnt(10)
	v_mul_f64 v[104:105], v[46:47], v[2:3]
	v_mul_f64 v[2:3], v[44:45], v[2:3]
	s_waitcnt vmcnt(9) lgkmcnt(9)
	v_mul_f64 v[106:107], v[50:51], v[6:7]
	v_mul_f64 v[6:7], v[48:49], v[6:7]
	;; [unrolled: 3-line block ×11, first 2 shown]
	v_fma_f64 v[44:45], v[44:45], v[0:1], v[104:105]
	v_fma_f64 v[2:3], v[0:1], v[46:47], -v[2:3]
	v_fma_f64 v[46:47], v[48:49], v[4:5], v[106:107]
	v_fma_f64 v[6:7], v[4:5], v[50:51], -v[6:7]
	;; [unrolled: 2-line block ×11, first 2 shown]
	v_mul_f64 v[0:1], v[44:45], s[0:1]
	v_mul_f64 v[2:3], v[2:3], s[0:1]
	;; [unrolled: 1-line block ×22, first 2 shown]
	v_add_co_u32 v44, vcc_lo, v102, s4
	v_add_co_ci_u32_e32 v45, vcc_lo, s3, v103, vcc_lo
	v_add_co_u32 v46, vcc_lo, v44, s4
	v_add_co_ci_u32_e32 v47, vcc_lo, s3, v45, vcc_lo
	;; [unrolled: 2-line block ×3, first 2 shown]
	global_store_dwordx4 v[88:89], v[0:3], off
	global_store_dwordx4 v[90:91], v[4:7], off
	;; [unrolled: 1-line block ×11, first 2 shown]
.LBB0_15:
	s_endpgm
	.section	.rodata,"a",@progbits
	.p2align	6, 0x0
	.amdhsa_kernel bluestein_single_fwd_len275_dim1_dp_op_CI_CI
		.amdhsa_group_segment_fixed_size 4400
		.amdhsa_private_segment_fixed_size 0
		.amdhsa_kernarg_size 104
		.amdhsa_user_sgpr_count 6
		.amdhsa_user_sgpr_private_segment_buffer 1
		.amdhsa_user_sgpr_dispatch_ptr 0
		.amdhsa_user_sgpr_queue_ptr 0
		.amdhsa_user_sgpr_kernarg_segment_ptr 1
		.amdhsa_user_sgpr_dispatch_id 0
		.amdhsa_user_sgpr_flat_scratch_init 0
		.amdhsa_user_sgpr_private_segment_size 0
		.amdhsa_wavefront_size32 1
		.amdhsa_uses_dynamic_stack 0
		.amdhsa_system_sgpr_private_segment_wavefront_offset 0
		.amdhsa_system_sgpr_workgroup_id_x 1
		.amdhsa_system_sgpr_workgroup_id_y 0
		.amdhsa_system_sgpr_workgroup_id_z 0
		.amdhsa_system_sgpr_workgroup_info 0
		.amdhsa_system_vgpr_workitem_id 0
		.amdhsa_next_free_vgpr 204
		.amdhsa_next_free_sgpr 36
		.amdhsa_reserve_vcc 1
		.amdhsa_reserve_flat_scratch 0
		.amdhsa_float_round_mode_32 0
		.amdhsa_float_round_mode_16_64 0
		.amdhsa_float_denorm_mode_32 3
		.amdhsa_float_denorm_mode_16_64 3
		.amdhsa_dx10_clamp 1
		.amdhsa_ieee_mode 1
		.amdhsa_fp16_overflow 0
		.amdhsa_workgroup_processor_mode 1
		.amdhsa_memory_ordered 1
		.amdhsa_forward_progress 0
		.amdhsa_shared_vgpr_count 0
		.amdhsa_exception_fp_ieee_invalid_op 0
		.amdhsa_exception_fp_denorm_src 0
		.amdhsa_exception_fp_ieee_div_zero 0
		.amdhsa_exception_fp_ieee_overflow 0
		.amdhsa_exception_fp_ieee_underflow 0
		.amdhsa_exception_fp_ieee_inexact 0
		.amdhsa_exception_int_div_zero 0
	.end_amdhsa_kernel
	.text
.Lfunc_end0:
	.size	bluestein_single_fwd_len275_dim1_dp_op_CI_CI, .Lfunc_end0-bluestein_single_fwd_len275_dim1_dp_op_CI_CI
                                        ; -- End function
	.section	.AMDGPU.csdata,"",@progbits
; Kernel info:
; codeLenInByte = 12096
; NumSgprs: 38
; NumVgprs: 204
; ScratchSize: 0
; MemoryBound: 0
; FloatMode: 240
; IeeeMode: 1
; LDSByteSize: 4400 bytes/workgroup (compile time only)
; SGPRBlocks: 4
; VGPRBlocks: 25
; NumSGPRsForWavesPerEU: 38
; NumVGPRsForWavesPerEU: 204
; Occupancy: 4
; WaveLimiterHint : 1
; COMPUTE_PGM_RSRC2:SCRATCH_EN: 0
; COMPUTE_PGM_RSRC2:USER_SGPR: 6
; COMPUTE_PGM_RSRC2:TRAP_HANDLER: 0
; COMPUTE_PGM_RSRC2:TGID_X_EN: 1
; COMPUTE_PGM_RSRC2:TGID_Y_EN: 0
; COMPUTE_PGM_RSRC2:TGID_Z_EN: 0
; COMPUTE_PGM_RSRC2:TIDIG_COMP_CNT: 0
	.text
	.p2alignl 6, 3214868480
	.fill 48, 4, 3214868480
	.type	__hip_cuid_54b319bf077bfa5f,@object ; @__hip_cuid_54b319bf077bfa5f
	.section	.bss,"aw",@nobits
	.globl	__hip_cuid_54b319bf077bfa5f
__hip_cuid_54b319bf077bfa5f:
	.byte	0                               ; 0x0
	.size	__hip_cuid_54b319bf077bfa5f, 1

	.ident	"AMD clang version 19.0.0git (https://github.com/RadeonOpenCompute/llvm-project roc-6.4.0 25133 c7fe45cf4b819c5991fe208aaa96edf142730f1d)"
	.section	".note.GNU-stack","",@progbits
	.addrsig
	.addrsig_sym __hip_cuid_54b319bf077bfa5f
	.amdgpu_metadata
---
amdhsa.kernels:
  - .args:
      - .actual_access:  read_only
        .address_space:  global
        .offset:         0
        .size:           8
        .value_kind:     global_buffer
      - .actual_access:  read_only
        .address_space:  global
        .offset:         8
        .size:           8
        .value_kind:     global_buffer
      - .actual_access:  read_only
        .address_space:  global
        .offset:         16
        .size:           8
        .value_kind:     global_buffer
      - .actual_access:  read_only
        .address_space:  global
        .offset:         24
        .size:           8
        .value_kind:     global_buffer
      - .actual_access:  read_only
        .address_space:  global
        .offset:         32
        .size:           8
        .value_kind:     global_buffer
      - .offset:         40
        .size:           8
        .value_kind:     by_value
      - .address_space:  global
        .offset:         48
        .size:           8
        .value_kind:     global_buffer
      - .address_space:  global
        .offset:         56
        .size:           8
        .value_kind:     global_buffer
      - .address_space:  global
        .offset:         64
        .size:           8
        .value_kind:     global_buffer
      - .address_space:  global
        .offset:         72
        .size:           8
        .value_kind:     global_buffer
      - .offset:         80
        .size:           4
        .value_kind:     by_value
      - .address_space:  global
        .offset:         88
        .size:           8
        .value_kind:     global_buffer
      - .address_space:  global
        .offset:         96
        .size:           8
        .value_kind:     global_buffer
    .group_segment_fixed_size: 4400
    .kernarg_segment_align: 8
    .kernarg_segment_size: 104
    .language:       OpenCL C
    .language_version:
      - 2
      - 0
    .max_flat_workgroup_size: 55
    .name:           bluestein_single_fwd_len275_dim1_dp_op_CI_CI
    .private_segment_fixed_size: 0
    .sgpr_count:     38
    .sgpr_spill_count: 0
    .symbol:         bluestein_single_fwd_len275_dim1_dp_op_CI_CI.kd
    .uniform_work_group_size: 1
    .uses_dynamic_stack: false
    .vgpr_count:     204
    .vgpr_spill_count: 0
    .wavefront_size: 32
    .workgroup_processor_mode: 1
amdhsa.target:   amdgcn-amd-amdhsa--gfx1030
amdhsa.version:
  - 1
  - 2
...

	.end_amdgpu_metadata
